;; amdgpu-corpus repo=ROCm/rocFFT kind=compiled arch=gfx906 opt=O3
	.text
	.amdgcn_target "amdgcn-amd-amdhsa--gfx906"
	.amdhsa_code_object_version 6
	.protected	fft_rtc_back_len576_factors_16_6_6_wgs_96_tpt_96_halfLds_dp_op_CI_CI_unitstride_sbrr_dirReg ; -- Begin function fft_rtc_back_len576_factors_16_6_6_wgs_96_tpt_96_halfLds_dp_op_CI_CI_unitstride_sbrr_dirReg
	.globl	fft_rtc_back_len576_factors_16_6_6_wgs_96_tpt_96_halfLds_dp_op_CI_CI_unitstride_sbrr_dirReg
	.p2align	8
	.type	fft_rtc_back_len576_factors_16_6_6_wgs_96_tpt_96_halfLds_dp_op_CI_CI_unitstride_sbrr_dirReg,@function
fft_rtc_back_len576_factors_16_6_6_wgs_96_tpt_96_halfLds_dp_op_CI_CI_unitstride_sbrr_dirReg: ; @fft_rtc_back_len576_factors_16_6_6_wgs_96_tpt_96_halfLds_dp_op_CI_CI_unitstride_sbrr_dirReg
; %bb.0:
	s_load_dwordx4 s[8:11], s[4:5], 0x58
	s_load_dwordx4 s[12:15], s[4:5], 0x0
	;; [unrolled: 1-line block ×3, first 2 shown]
	v_mul_u32_u24_e32 v1, 0x2ab, v0
	v_add_u32_sdwa v3, s6, v1 dst_sel:DWORD dst_unused:UNUSED_PAD src0_sel:DWORD src1_sel:WORD_1
	v_mov_b32_e32 v1, 0
	s_waitcnt lgkmcnt(0)
	v_cmp_lt_u64_e64 s[0:1], s[14:15], 2
	v_mov_b32_e32 v70, 0
	v_mov_b32_e32 v4, v1
	s_and_b64 vcc, exec, s[0:1]
	v_mov_b32_e32 v71, 0
	s_cbranch_vccnz .LBB0_8
; %bb.1:
	s_load_dwordx2 s[0:1], s[4:5], 0x10
	s_add_u32 s2, s18, 8
	s_addc_u32 s3, s19, 0
	s_add_u32 s6, s16, 8
	s_addc_u32 s7, s17, 0
	v_mov_b32_e32 v70, 0
	s_waitcnt lgkmcnt(0)
	s_add_u32 s20, s0, 8
	v_mov_b32_e32 v71, 0
	v_mov_b32_e32 v64, v70
	s_addc_u32 s21, s1, 0
	s_mov_b64 s[22:23], 1
	v_mov_b32_e32 v65, v71
.LBB0_2:                                ; =>This Inner Loop Header: Depth=1
	s_load_dwordx2 s[24:25], s[20:21], 0x0
                                        ; implicit-def: $vgpr66_vgpr67
	s_waitcnt lgkmcnt(0)
	v_or_b32_e32 v2, s25, v4
	v_cmp_ne_u64_e32 vcc, 0, v[1:2]
	s_and_saveexec_b64 s[0:1], vcc
	s_xor_b64 s[26:27], exec, s[0:1]
	s_cbranch_execz .LBB0_4
; %bb.3:                                ;   in Loop: Header=BB0_2 Depth=1
	v_cvt_f32_u32_e32 v2, s24
	v_cvt_f32_u32_e32 v5, s25
	s_sub_u32 s0, 0, s24
	s_subb_u32 s1, 0, s25
	v_mac_f32_e32 v2, 0x4f800000, v5
	v_rcp_f32_e32 v2, v2
	v_mul_f32_e32 v2, 0x5f7ffffc, v2
	v_mul_f32_e32 v5, 0x2f800000, v2
	v_trunc_f32_e32 v5, v5
	v_mac_f32_e32 v2, 0xcf800000, v5
	v_cvt_u32_f32_e32 v5, v5
	v_cvt_u32_f32_e32 v2, v2
	v_mul_lo_u32 v6, s0, v5
	v_mul_hi_u32 v7, s0, v2
	v_mul_lo_u32 v9, s1, v2
	v_mul_lo_u32 v8, s0, v2
	v_add_u32_e32 v6, v7, v6
	v_add_u32_e32 v6, v6, v9
	v_mul_hi_u32 v7, v2, v8
	v_mul_lo_u32 v9, v2, v6
	v_mul_hi_u32 v11, v2, v6
	v_mul_hi_u32 v10, v5, v8
	v_mul_lo_u32 v8, v5, v8
	v_mul_hi_u32 v12, v5, v6
	v_add_co_u32_e32 v7, vcc, v7, v9
	v_addc_co_u32_e32 v9, vcc, 0, v11, vcc
	v_mul_lo_u32 v6, v5, v6
	v_add_co_u32_e32 v7, vcc, v7, v8
	v_addc_co_u32_e32 v7, vcc, v9, v10, vcc
	v_addc_co_u32_e32 v8, vcc, 0, v12, vcc
	v_add_co_u32_e32 v6, vcc, v7, v6
	v_addc_co_u32_e32 v7, vcc, 0, v8, vcc
	v_add_co_u32_e32 v2, vcc, v2, v6
	v_addc_co_u32_e32 v5, vcc, v5, v7, vcc
	v_mul_lo_u32 v6, s0, v5
	v_mul_hi_u32 v7, s0, v2
	v_mul_lo_u32 v8, s1, v2
	v_mul_lo_u32 v9, s0, v2
	v_add_u32_e32 v6, v7, v6
	v_add_u32_e32 v6, v6, v8
	v_mul_lo_u32 v10, v2, v6
	v_mul_hi_u32 v11, v2, v9
	v_mul_hi_u32 v12, v2, v6
	v_mul_hi_u32 v8, v5, v9
	v_mul_lo_u32 v9, v5, v9
	v_mul_hi_u32 v7, v5, v6
	v_add_co_u32_e32 v10, vcc, v11, v10
	v_addc_co_u32_e32 v11, vcc, 0, v12, vcc
	v_mul_lo_u32 v6, v5, v6
	v_add_co_u32_e32 v9, vcc, v10, v9
	v_addc_co_u32_e32 v8, vcc, v11, v8, vcc
	v_addc_co_u32_e32 v7, vcc, 0, v7, vcc
	v_add_co_u32_e32 v6, vcc, v8, v6
	v_addc_co_u32_e32 v7, vcc, 0, v7, vcc
	v_add_co_u32_e32 v2, vcc, v2, v6
	v_addc_co_u32_e32 v7, vcc, v5, v7, vcc
	v_mad_u64_u32 v[5:6], s[0:1], v3, v7, 0
	v_mul_hi_u32 v8, v3, v2
	v_add_co_u32_e32 v9, vcc, v8, v5
	v_addc_co_u32_e32 v10, vcc, 0, v6, vcc
	v_mad_u64_u32 v[5:6], s[0:1], v4, v2, 0
	v_mad_u64_u32 v[7:8], s[0:1], v4, v7, 0
	v_add_co_u32_e32 v2, vcc, v9, v5
	v_addc_co_u32_e32 v2, vcc, v10, v6, vcc
	v_addc_co_u32_e32 v5, vcc, 0, v8, vcc
	v_add_co_u32_e32 v2, vcc, v2, v7
	v_addc_co_u32_e32 v7, vcc, 0, v5, vcc
	v_mul_lo_u32 v8, s25, v2
	v_mul_lo_u32 v9, s24, v7
	v_mad_u64_u32 v[5:6], s[0:1], s24, v2, 0
	v_add3_u32 v6, v6, v9, v8
	v_sub_u32_e32 v8, v4, v6
	v_mov_b32_e32 v9, s25
	v_sub_co_u32_e32 v5, vcc, v3, v5
	v_subb_co_u32_e64 v8, s[0:1], v8, v9, vcc
	v_subrev_co_u32_e64 v9, s[0:1], s24, v5
	v_subbrev_co_u32_e64 v8, s[0:1], 0, v8, s[0:1]
	v_cmp_le_u32_e64 s[0:1], s25, v8
	v_cndmask_b32_e64 v10, 0, -1, s[0:1]
	v_cmp_le_u32_e64 s[0:1], s24, v9
	v_cndmask_b32_e64 v9, 0, -1, s[0:1]
	v_cmp_eq_u32_e64 s[0:1], s25, v8
	v_cndmask_b32_e64 v8, v10, v9, s[0:1]
	v_add_co_u32_e64 v9, s[0:1], 2, v2
	v_addc_co_u32_e64 v10, s[0:1], 0, v7, s[0:1]
	v_add_co_u32_e64 v11, s[0:1], 1, v2
	v_addc_co_u32_e64 v12, s[0:1], 0, v7, s[0:1]
	v_subb_co_u32_e32 v6, vcc, v4, v6, vcc
	v_cmp_ne_u32_e64 s[0:1], 0, v8
	v_cmp_le_u32_e32 vcc, s25, v6
	v_cndmask_b32_e64 v8, v12, v10, s[0:1]
	v_cndmask_b32_e64 v10, 0, -1, vcc
	v_cmp_le_u32_e32 vcc, s24, v5
	v_cndmask_b32_e64 v5, 0, -1, vcc
	v_cmp_eq_u32_e32 vcc, s25, v6
	v_cndmask_b32_e32 v5, v10, v5, vcc
	v_cmp_ne_u32_e32 vcc, 0, v5
	v_cndmask_b32_e64 v5, v11, v9, s[0:1]
	v_cndmask_b32_e32 v67, v7, v8, vcc
	v_cndmask_b32_e32 v66, v2, v5, vcc
.LBB0_4:                                ;   in Loop: Header=BB0_2 Depth=1
	s_andn2_saveexec_b64 s[0:1], s[26:27]
	s_cbranch_execz .LBB0_6
; %bb.5:                                ;   in Loop: Header=BB0_2 Depth=1
	v_cvt_f32_u32_e32 v2, s24
	s_sub_i32 s26, 0, s24
	v_mov_b32_e32 v67, v1
	v_rcp_iflag_f32_e32 v2, v2
	v_mul_f32_e32 v2, 0x4f7ffffe, v2
	v_cvt_u32_f32_e32 v2, v2
	v_mul_lo_u32 v5, s26, v2
	v_mul_hi_u32 v5, v2, v5
	v_add_u32_e32 v2, v2, v5
	v_mul_hi_u32 v2, v3, v2
	v_mul_lo_u32 v5, v2, s24
	v_add_u32_e32 v6, 1, v2
	v_sub_u32_e32 v5, v3, v5
	v_subrev_u32_e32 v7, s24, v5
	v_cmp_le_u32_e32 vcc, s24, v5
	v_cndmask_b32_e32 v5, v5, v7, vcc
	v_cndmask_b32_e32 v2, v2, v6, vcc
	v_add_u32_e32 v6, 1, v2
	v_cmp_le_u32_e32 vcc, s24, v5
	v_cndmask_b32_e32 v66, v2, v6, vcc
.LBB0_6:                                ;   in Loop: Header=BB0_2 Depth=1
	s_or_b64 exec, exec, s[0:1]
	v_mul_lo_u32 v2, v67, s24
	v_mul_lo_u32 v7, v66, s25
	v_mad_u64_u32 v[5:6], s[0:1], v66, s24, 0
	s_load_dwordx2 s[0:1], s[6:7], 0x0
	s_load_dwordx2 s[24:25], s[2:3], 0x0
	v_add3_u32 v2, v6, v7, v2
	v_sub_co_u32_e32 v3, vcc, v3, v5
	v_subb_co_u32_e32 v2, vcc, v4, v2, vcc
	s_waitcnt lgkmcnt(0)
	v_mul_lo_u32 v4, s0, v2
	v_mul_lo_u32 v5, s1, v3
	v_mad_u64_u32 v[70:71], s[0:1], s0, v3, v[70:71]
	v_mul_lo_u32 v2, s24, v2
	v_mul_lo_u32 v6, s25, v3
	v_mad_u64_u32 v[64:65], s[0:1], s24, v3, v[64:65]
	s_add_u32 s22, s22, 1
	s_addc_u32 s23, s23, 0
	s_add_u32 s2, s2, 8
	v_add3_u32 v65, v6, v65, v2
	s_addc_u32 s3, s3, 0
	v_mov_b32_e32 v2, s14
	s_add_u32 s6, s6, 8
	v_mov_b32_e32 v3, s15
	s_addc_u32 s7, s7, 0
	v_cmp_ge_u64_e32 vcc, s[22:23], v[2:3]
	s_add_u32 s20, s20, 8
	v_add3_u32 v71, v5, v71, v4
	s_addc_u32 s21, s21, 0
	s_cbranch_vccnz .LBB0_9
; %bb.7:                                ;   in Loop: Header=BB0_2 Depth=1
	v_mov_b32_e32 v3, v66
	v_mov_b32_e32 v4, v67
	s_branch .LBB0_2
.LBB0_8:
	v_mov_b32_e32 v64, v70
	v_mov_b32_e32 v67, v4
	;; [unrolled: 1-line block ×4, first 2 shown]
.LBB0_9:
	s_lshl_b64 s[14:15], s[14:15], 3
	s_load_dwordx2 s[0:1], s[4:5], 0x28
	s_add_u32 s2, s18, s14
	s_mov_b32 s3, 0x2aaaaab
	v_mul_hi_u32 v1, v0, s3
	s_addc_u32 s3, s19, s15
	s_load_dwordx2 s[2:3], s[2:3], 0x0
	s_waitcnt lgkmcnt(0)
	v_cmp_gt_u64_e64 s[0:1], s[0:1], v[66:67]
	v_mul_u32_u24_e32 v1, 0x60, v1
	v_sub_u32_e32 v68, v0, v1
	v_mov_b32_e32 v69, 0
                                        ; implicit-def: $vgpr14_vgpr15
                                        ; implicit-def: $vgpr22_vgpr23
                                        ; implicit-def: $vgpr18_vgpr19
                                        ; implicit-def: $vgpr6_vgpr7
                                        ; implicit-def: $vgpr26_vgpr27
                                        ; implicit-def: $vgpr30_vgpr31
                                        ; implicit-def: $vgpr10_vgpr11
                                        ; implicit-def: $vgpr58_vgpr59
                                        ; implicit-def: $vgpr34_vgpr35
                                        ; implicit-def: $vgpr54_vgpr55
                                        ; implicit-def: $vgpr46_vgpr47
                                        ; implicit-def: $vgpr62_vgpr63
                                        ; implicit-def: $vgpr38_vgpr39
                                        ; implicit-def: $vgpr50_vgpr51
                                        ; implicit-def: $vgpr42_vgpr43
                                        ; implicit-def: $vgpr2_vgpr3
	s_and_saveexec_b64 s[4:5], s[0:1]
	s_cbranch_execz .LBB0_13
; %bb.10:
	v_cmp_gt_u32_e32 vcc, 36, v68
                                        ; implicit-def: $vgpr0_vgpr1
                                        ; implicit-def: $vgpr40_vgpr41
                                        ; implicit-def: $vgpr48_vgpr49
                                        ; implicit-def: $vgpr36_vgpr37
                                        ; implicit-def: $vgpr60_vgpr61
                                        ; implicit-def: $vgpr44_vgpr45
                                        ; implicit-def: $vgpr52_vgpr53
                                        ; implicit-def: $vgpr32_vgpr33
                                        ; implicit-def: $vgpr56_vgpr57
                                        ; implicit-def: $vgpr8_vgpr9
                                        ; implicit-def: $vgpr28_vgpr29
                                        ; implicit-def: $vgpr24_vgpr25
                                        ; implicit-def: $vgpr4_vgpr5
                                        ; implicit-def: $vgpr16_vgpr17
                                        ; implicit-def: $vgpr20_vgpr21
                                        ; implicit-def: $vgpr12_vgpr13
	s_and_saveexec_b64 s[6:7], vcc
	s_cbranch_execz .LBB0_12
; %bb.11:
	s_add_u32 s14, s16, s14
	s_addc_u32 s15, s17, s15
	s_load_dwordx2 s[14:15], s[14:15], 0x0
	v_mov_b32_e32 v4, s9
	v_mov_b32_e32 v69, 0
	s_waitcnt lgkmcnt(0)
	v_mul_lo_u32 v2, s15, v66
	v_mul_lo_u32 v3, s14, v67
	v_mad_u64_u32 v[0:1], s[14:15], s14, v66, 0
	v_add3_u32 v1, v1, v3, v2
	v_lshlrev_b64 v[0:1], 4, v[0:1]
	v_add_co_u32_e32 v2, vcc, s8, v0
	v_addc_co_u32_e32 v3, vcc, v4, v1, vcc
	v_lshlrev_b64 v[0:1], 4, v[70:71]
	s_movk_i32 s8, 0x1000
	v_add_co_u32_e32 v2, vcc, v2, v0
	v_addc_co_u32_e32 v3, vcc, v3, v1, vcc
	v_lshlrev_b64 v[0:1], 4, v[68:69]
	v_add_co_u32_e32 v69, vcc, v2, v0
	v_addc_co_u32_e32 v70, vcc, v3, v1, vcc
	v_add_co_u32_e32 v71, vcc, s8, v69
	v_addc_co_u32_e32 v72, vcc, 0, v70, vcc
	v_add_co_u32_e32 v73, vcc, 0x2000, v69
	global_load_dwordx4 v[0:3], v[69:70], off
	global_load_dwordx4 v[12:15], v[69:70], off offset:576
	global_load_dwordx4 v[20:23], v[69:70], off offset:1152
	global_load_dwordx4 v[16:19], v[69:70], off offset:1728
	global_load_dwordx4 v[4:7], v[69:70], off offset:2304
	global_load_dwordx4 v[24:27], v[69:70], off offset:2880
	v_addc_co_u32_e32 v74, vcc, 0, v70, vcc
	global_load_dwordx4 v[40:43], v[69:70], off offset:3456
	global_load_dwordx4 v[28:31], v[69:70], off offset:4032
	;; [unrolled: 1-line block ×10, first 2 shown]
.LBB0_12:
	s_or_b64 exec, exec, s[6:7]
	v_mov_b32_e32 v69, v68
.LBB0_13:
	s_or_b64 exec, exec, s[4:5]
	s_waitcnt vmcnt(5)
	v_add_f64 v[58:59], v[22:23], -v[58:59]
	s_waitcnt vmcnt(1)
	v_add_f64 v[60:61], v[40:41], -v[60:61]
	v_add_f64 v[62:63], v[42:43], -v[62:63]
	;; [unrolled: 1-line block ×7, first 2 shown]
	v_fma_f64 v[48:49], v[22:23], 2.0, -v[58:59]
	v_fma_f64 v[22:23], v[40:41], 2.0, -v[60:61]
	;; [unrolled: 1-line block ×3, first 2 shown]
	v_add_f64 v[42:43], v[24:25], -v[44:45]
	v_add_f64 v[34:35], v[18:19], -v[34:35]
	s_waitcnt vmcnt(0)
	v_add_f64 v[36:37], v[28:29], -v[36:37]
	v_add_f64 v[72:73], v[30:31], -v[38:39]
	v_fma_f64 v[20:21], v[20:21], 2.0, -v[56:57]
	v_fma_f64 v[12:13], v[12:13], 2.0, -v[70:71]
	v_fma_f64 v[14:15], v[14:15], 2.0, -v[50:51]
	v_fma_f64 v[26:27], v[26:27], 2.0, -v[46:47]
	v_fma_f64 v[24:25], v[24:25], 2.0, -v[42:43]
	v_add_f64 v[74:75], v[56:57], v[62:63]
	v_add_f64 v[76:77], v[58:59], -v[60:61]
	v_fma_f64 v[16:17], v[16:17], 2.0, -v[32:33]
	v_fma_f64 v[18:19], v[18:19], 2.0, -v[34:35]
	;; [unrolled: 1-line block ×4, first 2 shown]
	v_add_f64 v[38:39], v[20:21], -v[22:23]
	v_add_f64 v[44:45], v[48:49], -v[40:41]
	v_fma_f64 v[22:23], v[56:57], 2.0, -v[74:75]
	v_fma_f64 v[40:41], v[58:59], 2.0, -v[76:77]
	v_add_f64 v[56:57], v[12:13], -v[24:25]
	v_add_f64 v[26:27], v[14:15], -v[26:27]
	v_add_f64 v[58:59], v[46:47], v[70:71]
	v_add_f64 v[78:79], v[50:51], -v[42:43]
	v_add_f64 v[24:25], v[16:17], -v[28:29]
	;; [unrolled: 1-line block ×3, first 2 shown]
	v_add_f64 v[30:31], v[32:33], v[72:73]
	v_add_f64 v[36:37], v[34:35], -v[36:37]
	s_mov_b32 s4, 0x667f3bcd
	v_fma_f64 v[60:61], v[14:15], 2.0, -v[26:27]
	v_fma_f64 v[14:15], v[70:71], 2.0, -v[58:59]
	;; [unrolled: 1-line block ×3, first 2 shown]
	s_mov_b32 s5, 0x3fe6a09e
	s_mov_b32 s7, 0xbfe6a09e
	v_fma_f64 v[32:33], v[32:33], 2.0, -v[30:31]
	v_fma_f64 v[34:35], v[34:35], 2.0, -v[36:37]
	s_mov_b32 s6, s4
	v_mul_f64 v[62:63], v[22:23], s[4:5]
	v_mul_f64 v[70:71], v[40:41], s[4:5]
	v_fma_f64 v[50:51], v[30:31], s[4:5], v[58:59]
	v_fma_f64 v[80:81], v[36:37], s[4:5], v[78:79]
	v_add_f64 v[82:83], v[28:29], v[56:57]
	v_fma_f64 v[22:23], v[32:33], s[6:7], v[14:15]
	v_fma_f64 v[40:41], v[34:35], s[6:7], v[42:43]
	v_add_f64 v[84:85], v[26:27], -v[24:25]
	v_fma_f64 v[12:13], v[12:13], 2.0, -v[56:57]
	v_fma_f64 v[16:17], v[16:17], 2.0, -v[24:25]
	;; [unrolled: 1-line block ×3, first 2 shown]
	v_fma_f64 v[24:25], v[36:37], s[4:5], v[50:51]
	v_fma_f64 v[28:29], v[30:31], s[6:7], v[80:81]
	;; [unrolled: 1-line block ×4, first 2 shown]
	v_fma_f64 v[22:23], v[56:57], 2.0, -v[82:83]
	v_fma_f64 v[36:37], v[26:27], 2.0, -v[84:85]
	v_add_f64 v[52:53], v[4:5], -v[52:53]
	v_add_f64 v[54:55], v[6:7], -v[54:55]
	v_mul_f64 v[72:73], v[74:75], s[4:5]
	v_mul_f64 v[74:75], v[76:77], s[4:5]
	v_add_f64 v[30:31], v[12:13], -v[16:17]
	v_add_f64 v[76:77], v[60:61], -v[18:19]
	v_fma_f64 v[26:27], v[14:15], 2.0, -v[34:35]
	v_fma_f64 v[40:41], v[42:43], 2.0, -v[46:47]
	;; [unrolled: 1-line block ×4, first 2 shown]
	v_mul_f64 v[32:33], v[22:23], s[4:5]
	v_mul_f64 v[50:51], v[36:37], s[4:5]
	v_mul_f64 v[36:37], v[82:83], s[4:5]
	v_mul_f64 v[56:57], v[84:85], s[4:5]
	v_cmp_gt_u32_e32 vcc, 36, v68
	s_and_saveexec_b64 s[4:5], vcc
	s_cbranch_execz .LBB0_15
; %bb.14:
	v_add_f64 v[8:9], v[0:1], -v[8:9]
	v_fma_f64 v[4:5], v[4:5], 2.0, -v[52:53]
	v_fma_f64 v[18:19], v[20:21], 2.0, -v[38:39]
	s_mov_b32 s8, 0xa6aea964
	s_mov_b32 s9, 0x3fd87de2
	;; [unrolled: 1-line block ×5, first 2 shown]
	v_add_f64 v[14:15], v[54:55], v[8:9]
	v_fma_f64 v[0:1], v[0:1], 2.0, -v[8:9]
	s_mov_b32 s6, 0xcf328d46
	v_fma_f64 v[78:79], v[12:13], 2.0, -v[30:31]
	v_add_f64 v[16:17], v[72:73], v[14:15]
	v_fma_f64 v[8:9], v[8:9], 2.0, -v[14:15]
	v_add_f64 v[4:5], v[0:1], -v[4:5]
	v_add_f64 v[82:83], v[74:75], v[16:17]
	v_add_f64 v[16:17], v[8:9], -v[62:63]
	v_add_f64 v[86:87], v[44:45], v[4:5]
	v_fma_f64 v[0:1], v[0:1], 2.0, -v[4:5]
	v_fma_f64 v[88:89], v[14:15], 2.0, -v[82:83]
	v_add_f64 v[94:95], v[70:71], v[16:17]
	v_fma_f64 v[4:5], v[4:5], 2.0, -v[86:87]
	v_add_f64 v[90:91], v[0:1], -v[18:19]
	v_fma_f64 v[12:13], v[24:25], s[6:7], v[82:83]
	v_add_f64 v[20:21], v[36:37], v[86:87]
	v_fma_f64 v[14:15], v[42:43], s[14:15], v[88:89]
	v_fma_f64 v[16:17], v[34:35], s[8:9], v[94:95]
	v_fma_f64 v[8:9], v[8:9], 2.0, -v[94:95]
	v_add_f64 v[80:81], v[4:5], -v[32:33]
	v_fma_f64 v[0:1], v[0:1], 2.0, -v[90:91]
	v_fma_f64 v[22:23], v[28:29], s[8:9], v[12:13]
	v_add_f64 v[20:21], v[56:57], v[20:21]
	v_fma_f64 v[14:15], v[58:59], s[6:7], v[14:15]
	v_fma_f64 v[18:19], v[46:47], s[6:7], v[16:17]
	s_mov_b32 s7, 0xbfed906b
	v_fma_f64 v[84:85], v[26:27], s[6:7], v[8:9]
	v_add_f64 v[16:17], v[76:77], v[90:91]
	v_add_f64 v[12:13], v[50:51], v[80:81]
	v_add_f64 v[78:79], v[0:1], -v[78:79]
	v_fma_f64 v[92:93], v[88:89], 2.0, -v[14:15]
	v_fma_f64 v[88:89], v[94:95], 2.0, -v[18:19]
	v_fma_f64 v[80:81], v[40:41], s[8:9], v[84:85]
	v_fma_f64 v[84:85], v[82:83], 2.0, -v[22:23]
	v_fma_f64 v[82:83], v[86:87], 2.0, -v[20:21]
	;; [unrolled: 1-line block ×5, first 2 shown]
	v_lshl_add_u32 v0, v68, 7, 0
	v_fma_f64 v[96:97], v[8:9], 2.0, -v[80:81]
	ds_write_b128 v0, v[82:85] offset:48
	ds_write_b128 v0, v[12:15] offset:80
	;; [unrolled: 1-line block ×6, first 2 shown]
	ds_write_b128 v0, v[94:97]
	ds_write_b128 v0, v[20:23] offset:112
.LBB0_15:
	s_or_b64 exec, exec, s[4:5]
	v_lshl_add_u32 v78, v68, 3, 0
	v_add_u32_e32 v4, 0x400, v78
	v_add_u32_e32 v8, 0x800, v78
	s_waitcnt lgkmcnt(0)
	s_barrier
	ds_read2_b64 v[12:15], v78 offset1:96
	ds_read2_b64 v[16:19], v4 offset0:64 offset1:160
	ds_read2_b64 v[20:23], v8 offset0:128 offset1:224
	s_waitcnt lgkmcnt(0)
	s_barrier
	s_and_saveexec_b64 s[4:5], vcc
	s_cbranch_execz .LBB0_17
; %bb.16:
	v_add_f64 v[0:1], v[2:3], -v[10:11]
	v_fma_f64 v[5:6], v[6:7], 2.0, -v[54:55]
	v_fma_f64 v[44:45], v[48:49], 2.0, -v[44:45]
	s_mov_b32 s6, 0xa6aea964
	s_mov_b32 s7, 0xbfd87de2
	;; [unrolled: 1-line block ×4, first 2 shown]
	v_fma_f64 v[48:49], v[60:61], 2.0, -v[76:77]
	v_add_f64 v[9:10], v[0:1], -v[52:53]
	v_fma_f64 v[2:3], v[2:3], 2.0, -v[0:1]
	v_fma_f64 v[0:1], v[0:1], 2.0, -v[9:10]
	v_add_f64 v[52:53], v[9:10], v[74:75]
	v_add_f64 v[5:6], v[2:3], -v[5:6]
	v_add_f64 v[54:55], v[0:1], -v[70:71]
	;; [unrolled: 1-line block ×4, first 2 shown]
	v_fma_f64 v[2:3], v[2:3], 2.0, -v[5:6]
	v_add_f64 v[54:55], v[54:55], -v[62:63]
	v_fma_f64 v[9:10], v[9:10], 2.0, -v[70:71]
	v_fma_f64 v[5:6], v[5:6], 2.0, -v[52:53]
	v_add_f64 v[44:45], v[2:3], -v[44:45]
	v_fma_f64 v[60:61], v[0:1], 2.0, -v[54:55]
	v_fma_f64 v[0:1], v[58:59], s[6:7], v[9:10]
	v_fma_f64 v[38:39], v[46:47], s[8:9], v[54:55]
	v_add_f64 v[50:51], v[5:6], -v[50:51]
	s_mov_b32 s9, 0xbfed906b
	s_mov_b32 s8, 0xcf328d46
	v_add_f64 v[46:47], v[56:57], v[52:53]
	v_fma_f64 v[56:57], v[2:3], 2.0, -v[44:45]
	v_fma_f64 v[58:59], v[40:41], s[8:9], v[60:61]
	v_fma_f64 v[2:3], v[42:43], s[8:9], v[0:1]
	;; [unrolled: 1-line block ×3, first 2 shown]
	s_mov_b32 s9, 0x3fed906b
	v_fma_f64 v[42:43], v[28:29], s[8:9], v[70:71]
	v_add_f64 v[0:1], v[50:51], -v[32:33]
	v_add_f64 v[38:39], v[44:45], -v[30:31]
	;; [unrolled: 1-line block ×4, first 2 shown]
	v_fma_f64 v[34:35], v[26:27], s[6:7], v[58:59]
	v_fma_f64 v[48:49], v[9:10], 2.0, -v[2:3]
	v_fma_f64 v[26:27], v[54:55], 2.0, -v[40:41]
	v_fma_f64 v[30:31], v[24:25], s[6:7], v[42:43]
	v_fma_f64 v[46:47], v[5:6], 2.0, -v[0:1]
	v_fma_f64 v[24:25], v[44:45], 2.0, -v[38:39]
	;; [unrolled: 1-line block ×5, first 2 shown]
	s_movk_i32 s8, 0x78
	v_mad_u32_u24 v5, v68, s8, v78
	v_fma_f64 v[44:45], v[70:71], 2.0, -v[30:31]
	ds_write_b128 v5, v[0:3] offset:80
	ds_write_b128 v5, v[38:41] offset:96
	;; [unrolled: 1-line block ×5, first 2 shown]
	ds_write_b128 v5, v[50:53]
	ds_write_b128 v5, v[42:45] offset:48
	ds_write_b128 v5, v[28:31] offset:112
.LBB0_17:
	s_or_b64 exec, exec, s[4:5]
	v_and_b32_e32 v5, 15, v68
	v_mul_u32_u24_e32 v0, 5, v5
	v_lshlrev_b32_e32 v6, 4, v0
	s_waitcnt lgkmcnt(0)
	s_barrier
	global_load_dwordx4 v[0:3], v6, s[12:13]
	global_load_dwordx4 v[24:27], v6, s[12:13] offset:32
	global_load_dwordx4 v[28:31], v6, s[12:13] offset:64
	;; [unrolled: 1-line block ×4, first 2 shown]
	ds_read2_b64 v[40:43], v78 offset1:96
	ds_read2_b64 v[44:47], v4 offset0:64 offset1:160
	ds_read2_b64 v[48:51], v8 offset0:128 offset1:224
	v_lshrrev_b32_e32 v6, 4, v68
	v_mul_u32_u24_e32 v6, 0x60, v6
	v_or_b32_e32 v5, v6, v5
	v_lshl_add_u32 v58, v5, 3, 0
	s_mov_b32 s4, 0xe8584caa
	s_mov_b32 s5, 0xbfebb67a
	;; [unrolled: 1-line block ×4, first 2 shown]
	s_waitcnt vmcnt(0) lgkmcnt(0)
	s_barrier
	v_mul_f64 v[5:6], v[42:43], v[2:3]
	v_mul_f64 v[9:10], v[18:19], v[26:27]
	;; [unrolled: 1-line block ×9, first 2 shown]
	v_fma_f64 v[9:10], v[46:47], v[24:25], -v[9:10]
	v_fma_f64 v[46:47], v[50:51], v[28:29], -v[52:53]
	v_mul_f64 v[38:39], v[20:21], v[38:39]
	v_fma_f64 v[18:19], v[18:19], v[24:25], v[26:27]
	v_fma_f64 v[22:23], v[22:23], v[28:29], v[30:31]
	v_fma_f64 v[2:3], v[42:43], v[0:1], -v[2:3]
	v_fma_f64 v[16:17], v[16:17], v[32:33], v[54:55]
	v_fma_f64 v[32:33], v[44:45], v[32:33], -v[34:35]
	v_fma_f64 v[20:21], v[20:21], v[36:37], v[56:57]
	v_add_f64 v[24:25], v[9:10], v[46:47]
	v_fma_f64 v[34:35], v[48:49], v[36:37], -v[38:39]
	v_fma_f64 v[0:1], v[14:15], v[0:1], v[5:6]
	v_add_f64 v[30:31], v[18:19], v[22:23]
	v_add_f64 v[36:37], v[18:19], -v[22:23]
	v_add_f64 v[5:6], v[12:13], v[16:17]
	v_add_f64 v[28:29], v[40:41], v[32:33]
	;; [unrolled: 1-line block ×3, first 2 shown]
	v_fma_f64 v[24:25], v[24:25], -0.5, v[2:3]
	v_add_f64 v[38:39], v[9:10], -v[46:47]
	v_add_f64 v[18:19], v[0:1], v[18:19]
	v_add_f64 v[2:3], v[2:3], v[9:10]
	v_fma_f64 v[0:1], v[30:31], -0.5, v[0:1]
	v_add_f64 v[16:17], v[16:17], -v[20:21]
	v_add_f64 v[5:6], v[5:6], v[20:21]
	v_add_f64 v[26:27], v[32:33], -v[34:35]
	v_fma_f64 v[9:10], v[36:37], s[6:7], v[24:25]
	v_fma_f64 v[20:21], v[36:37], s[4:5], v[24:25]
	v_add_f64 v[32:33], v[32:33], v[34:35]
	v_fma_f64 v[11:12], v[14:15], -0.5, v[12:13]
	v_add_f64 v[13:14], v[28:29], v[34:35]
	v_add_f64 v[18:19], v[18:19], v[22:23]
	v_fma_f64 v[22:23], v[38:39], s[4:5], v[0:1]
	v_fma_f64 v[0:1], v[38:39], s[6:7], v[0:1]
	v_mul_f64 v[28:29], v[9:10], s[4:5]
	v_mul_f64 v[30:31], v[20:21], s[4:5]
	v_fma_f64 v[24:25], v[32:33], -0.5, v[40:41]
	v_mul_f64 v[9:10], v[9:10], 0.5
	v_mul_f64 v[20:21], v[20:21], -0.5
	v_fma_f64 v[32:33], v[26:27], s[4:5], v[11:12]
	v_fma_f64 v[11:12], v[26:27], s[6:7], v[11:12]
	v_add_f64 v[2:3], v[2:3], v[46:47]
	v_fma_f64 v[28:29], v[22:23], 0.5, v[28:29]
	v_fma_f64 v[30:31], v[0:1], -0.5, v[30:31]
	v_fma_f64 v[26:27], v[16:17], s[6:7], v[24:25]
	v_fma_f64 v[9:10], v[22:23], s[6:7], v[9:10]
	;; [unrolled: 1-line block ×4, first 2 shown]
	v_add_f64 v[24:25], v[5:6], v[18:19]
	v_add_f64 v[5:6], v[5:6], -v[18:19]
	v_add_f64 v[17:18], v[32:33], v[28:29]
	v_add_f64 v[19:20], v[11:12], v[30:31]
	v_add_f64 v[21:22], v[32:33], -v[28:29]
	v_add_f64 v[11:12], v[11:12], -v[30:31]
	v_add_f64 v[34:35], v[13:14], v[2:3]
	v_add_f64 v[28:29], v[26:27], v[9:10]
	v_add_f64 v[13:14], v[13:14], -v[2:3]
	v_add_f64 v[30:31], v[15:16], v[0:1]
	v_add_f64 v[26:27], v[26:27], -v[9:10]
	v_add_f64 v[15:16], v[15:16], -v[0:1]
	ds_write2_b64 v58, v[24:25], v[17:18] offset1:16
	ds_write2_b64 v58, v[19:20], v[5:6] offset0:32 offset1:48
	ds_write2_b64 v58, v[21:22], v[11:12] offset0:64 offset1:80
	s_waitcnt lgkmcnt(0)
	s_barrier
	ds_read2_b64 v[0:3], v78 offset1:96
	ds_read2_b64 v[4:7], v4 offset0:64 offset1:160
	ds_read2_b64 v[8:11], v8 offset0:128 offset1:224
	s_waitcnt lgkmcnt(0)
	s_barrier
	ds_write2_b64 v58, v[34:35], v[28:29] offset1:16
	ds_write2_b64 v58, v[30:31], v[13:14] offset0:32 offset1:48
	ds_write2_b64 v58, v[26:27], v[15:16] offset0:64 offset1:80
	s_waitcnt lgkmcnt(0)
	s_barrier
	s_and_saveexec_b64 s[8:9], s[0:1]
	s_cbranch_execz .LBB0_19
; %bb.18:
	v_mul_u32_u24_e32 v12, 5, v68
	v_lshlrev_b32_e32 v32, 4, v12
	global_load_dwordx4 v[12:15], v32, s[12:13] offset:1296
	global_load_dwordx4 v[16:19], v32, s[12:13] offset:1328
	global_load_dwordx4 v[20:23], v32, s[12:13] offset:1312
	global_load_dwordx4 v[24:27], v32, s[12:13] offset:1344
	global_load_dwordx4 v[28:31], v32, s[12:13] offset:1280
	v_mul_lo_u32 v52, s3, v66
	v_mul_lo_u32 v53, s2, v67
	v_mad_u64_u32 v[44:45], s[0:1], s2, v66, 0
	v_add_u32_e32 v36, 0x400, v78
	v_add_u32_e32 v40, 0x800, v78
	v_add3_u32 v45, v45, v53, v52
	v_lshlrev_b64 v[44:45], 4, v[44:45]
	v_mov_b32_e32 v54, s11
	v_lshlrev_b64 v[46:47], 4, v[64:65]
	v_add_co_u32_e32 v44, vcc, s10, v44
	ds_read2_b64 v[32:35], v78 offset1:96
	v_mov_b32_e32 v70, 0
	ds_read2_b64 v[36:39], v36 offset0:64 offset1:160
	ds_read2_b64 v[40:43], v40 offset0:128 offset1:224
	v_addc_co_u32_e32 v45, vcc, v54, v45, vcc
	v_lshlrev_b64 v[48:49], 4, v[69:70]
	v_add_co_u32_e32 v46, vcc, v44, v46
	v_addc_co_u32_e32 v47, vcc, v45, v47, vcc
	v_add_co_u32_e32 v44, vcc, v46, v48
	v_addc_co_u32_e32 v45, vcc, v47, v49, vcc
	v_or_b32_e32 v69, 0x180, v69
	v_lshlrev_b64 v[50:51], 4, v[69:70]
	s_movk_i32 s0, 0x1000
	v_add_co_u32_e32 v46, vcc, v46, v50
	v_addc_co_u32_e32 v47, vcc, v47, v51, vcc
	s_waitcnt vmcnt(4)
	v_mul_f64 v[48:49], v[4:5], v[14:15]
	s_waitcnt lgkmcnt(1)
	v_mul_f64 v[14:15], v[36:37], v[14:15]
	s_waitcnt vmcnt(2)
	v_mul_f64 v[52:53], v[6:7], v[22:23]
	s_waitcnt vmcnt(1)
	v_mul_f64 v[54:55], v[10:11], v[26:27]
	v_mul_f64 v[50:51], v[8:9], v[18:19]
	s_waitcnt lgkmcnt(0)
	v_mul_f64 v[18:19], v[40:41], v[18:19]
	s_waitcnt vmcnt(0)
	v_mul_f64 v[56:57], v[2:3], v[28:29]
	v_mul_f64 v[22:23], v[38:39], v[22:23]
	;; [unrolled: 1-line block ×4, first 2 shown]
	v_fma_f64 v[36:37], v[36:37], v[12:13], -v[48:49]
	v_fma_f64 v[4:5], v[4:5], v[12:13], v[14:15]
	v_fma_f64 v[12:13], v[38:39], v[20:21], -v[52:53]
	v_fma_f64 v[14:15], v[42:43], v[24:25], -v[54:55]
	;; [unrolled: 1-line block ×3, first 2 shown]
	v_fma_f64 v[8:9], v[8:9], v[16:17], v[18:19]
	v_fma_f64 v[6:7], v[6:7], v[20:21], v[22:23]
	;; [unrolled: 1-line block ×3, first 2 shown]
	v_fma_f64 v[2:3], v[34:35], v[28:29], -v[2:3]
	v_fma_f64 v[16:17], v[34:35], v[30:31], v[56:57]
	v_add_f64 v[34:35], v[32:33], v[36:37]
	v_add_f64 v[18:19], v[12:13], v[14:15]
	;; [unrolled: 1-line block ×3, first 2 shown]
	v_add_f64 v[25:26], v[12:13], -v[14:15]
	v_add_f64 v[22:23], v[4:5], -v[8:9]
	v_add_f64 v[27:28], v[6:7], v[10:11]
	v_add_f64 v[29:30], v[6:7], -v[10:11]
	v_add_f64 v[12:13], v[12:13], v[2:3]
	v_add_f64 v[6:7], v[6:7], v[16:17]
	v_fma_f64 v[2:3], v[18:19], -0.5, v[2:3]
	v_add_f64 v[18:19], v[36:37], -v[40:41]
	v_add_f64 v[36:37], v[4:5], v[8:9]
	v_add_f64 v[4:5], v[0:1], v[4:5]
	v_fma_f64 v[20:21], v[20:21], -0.5, v[32:33]
	v_fma_f64 v[16:17], v[27:28], -0.5, v[16:17]
	v_add_f64 v[12:13], v[14:15], v[12:13]
	v_add_f64 v[27:28], v[34:35], v[40:41]
	v_fma_f64 v[31:32], v[29:30], s[4:5], v[2:3]
	v_fma_f64 v[2:3], v[29:30], s[6:7], v[2:3]
	v_fma_f64 v[0:1], v[36:37], -0.5, v[0:1]
	v_add_f64 v[4:5], v[4:5], v[8:9]
	v_add_f64 v[8:9], v[10:11], v[6:7]
	v_fma_f64 v[6:7], v[25:26], s[6:7], v[16:17]
	v_fma_f64 v[10:11], v[25:26], s[4:5], v[16:17]
	;; [unrolled: 1-line block ×4, first 2 shown]
	v_mul_f64 v[16:17], v[2:3], 0.5
	v_mul_f64 v[22:23], v[2:3], s[4:5]
	v_mul_f64 v[14:15], v[31:32], -0.5
	v_mul_f64 v[25:26], v[31:32], s[4:5]
	v_fma_f64 v[35:36], v[18:19], s[4:5], v[0:1]
	v_fma_f64 v[31:32], v[18:19], s[6:7], v[0:1]
	v_add_f64 v[0:1], v[4:5], -v[8:9]
	v_add_f64 v[4:5], v[4:5], v[8:9]
	v_fma_f64 v[16:17], v[10:11], s[6:7], v[16:17]
	v_fma_f64 v[37:38], v[10:11], 0.5, v[22:23]
	v_fma_f64 v[33:34], v[6:7], s[6:7], v[14:15]
	v_fma_f64 v[25:26], v[6:7], -0.5, v[25:26]
	v_add_f64 v[6:7], v[27:28], v[12:13]
	v_add_f64 v[2:3], v[27:28], -v[12:13]
	v_add_co_u32_e32 v24, vcc, s0, v44
	v_add_f64 v[14:15], v[20:21], -v[16:17]
	v_add_f64 v[22:23], v[20:21], v[16:17]
	v_add_f64 v[20:21], v[35:36], v[37:38]
	;; [unrolled: 1-line block ×4, first 2 shown]
	v_add_f64 v[12:13], v[35:36], -v[37:38]
	v_add_f64 v[10:11], v[29:30], -v[33:34]
	;; [unrolled: 1-line block ×3, first 2 shown]
	v_addc_co_u32_e32 v25, vcc, 0, v45, vcc
	global_store_dwordx4 v[44:45], v[4:7], off
	global_store_dwordx4 v[24:25], v[0:3], off offset:512
	global_store_dwordx4 v[44:45], v[20:23], off offset:1536
	;; [unrolled: 1-line block ×3, first 2 shown]
	global_store_dwordx4 v[46:47], v[12:15], off
	global_store_dwordx4 v[24:25], v[8:11], off offset:3584
.LBB0_19:
	s_endpgm
	.section	.rodata,"a",@progbits
	.p2align	6, 0x0
	.amdhsa_kernel fft_rtc_back_len576_factors_16_6_6_wgs_96_tpt_96_halfLds_dp_op_CI_CI_unitstride_sbrr_dirReg
		.amdhsa_group_segment_fixed_size 0
		.amdhsa_private_segment_fixed_size 0
		.amdhsa_kernarg_size 104
		.amdhsa_user_sgpr_count 6
		.amdhsa_user_sgpr_private_segment_buffer 1
		.amdhsa_user_sgpr_dispatch_ptr 0
		.amdhsa_user_sgpr_queue_ptr 0
		.amdhsa_user_sgpr_kernarg_segment_ptr 1
		.amdhsa_user_sgpr_dispatch_id 0
		.amdhsa_user_sgpr_flat_scratch_init 0
		.amdhsa_user_sgpr_private_segment_size 0
		.amdhsa_uses_dynamic_stack 0
		.amdhsa_system_sgpr_private_segment_wavefront_offset 0
		.amdhsa_system_sgpr_workgroup_id_x 1
		.amdhsa_system_sgpr_workgroup_id_y 0
		.amdhsa_system_sgpr_workgroup_id_z 0
		.amdhsa_system_sgpr_workgroup_info 0
		.amdhsa_system_vgpr_workitem_id 0
		.amdhsa_next_free_vgpr 98
		.amdhsa_next_free_sgpr 28
		.amdhsa_reserve_vcc 1
		.amdhsa_reserve_flat_scratch 0
		.amdhsa_float_round_mode_32 0
		.amdhsa_float_round_mode_16_64 0
		.amdhsa_float_denorm_mode_32 3
		.amdhsa_float_denorm_mode_16_64 3
		.amdhsa_dx10_clamp 1
		.amdhsa_ieee_mode 1
		.amdhsa_fp16_overflow 0
		.amdhsa_exception_fp_ieee_invalid_op 0
		.amdhsa_exception_fp_denorm_src 0
		.amdhsa_exception_fp_ieee_div_zero 0
		.amdhsa_exception_fp_ieee_overflow 0
		.amdhsa_exception_fp_ieee_underflow 0
		.amdhsa_exception_fp_ieee_inexact 0
		.amdhsa_exception_int_div_zero 0
	.end_amdhsa_kernel
	.text
.Lfunc_end0:
	.size	fft_rtc_back_len576_factors_16_6_6_wgs_96_tpt_96_halfLds_dp_op_CI_CI_unitstride_sbrr_dirReg, .Lfunc_end0-fft_rtc_back_len576_factors_16_6_6_wgs_96_tpt_96_halfLds_dp_op_CI_CI_unitstride_sbrr_dirReg
                                        ; -- End function
	.section	.AMDGPU.csdata,"",@progbits
; Kernel info:
; codeLenInByte = 4704
; NumSgprs: 32
; NumVgprs: 98
; ScratchSize: 0
; MemoryBound: 1
; FloatMode: 240
; IeeeMode: 1
; LDSByteSize: 0 bytes/workgroup (compile time only)
; SGPRBlocks: 3
; VGPRBlocks: 24
; NumSGPRsForWavesPerEU: 32
; NumVGPRsForWavesPerEU: 98
; Occupancy: 2
; WaveLimiterHint : 1
; COMPUTE_PGM_RSRC2:SCRATCH_EN: 0
; COMPUTE_PGM_RSRC2:USER_SGPR: 6
; COMPUTE_PGM_RSRC2:TRAP_HANDLER: 0
; COMPUTE_PGM_RSRC2:TGID_X_EN: 1
; COMPUTE_PGM_RSRC2:TGID_Y_EN: 0
; COMPUTE_PGM_RSRC2:TGID_Z_EN: 0
; COMPUTE_PGM_RSRC2:TIDIG_COMP_CNT: 0
	.type	__hip_cuid_e81d105895ae60d8,@object ; @__hip_cuid_e81d105895ae60d8
	.section	.bss,"aw",@nobits
	.globl	__hip_cuid_e81d105895ae60d8
__hip_cuid_e81d105895ae60d8:
	.byte	0                               ; 0x0
	.size	__hip_cuid_e81d105895ae60d8, 1

	.ident	"AMD clang version 19.0.0git (https://github.com/RadeonOpenCompute/llvm-project roc-6.4.0 25133 c7fe45cf4b819c5991fe208aaa96edf142730f1d)"
	.section	".note.GNU-stack","",@progbits
	.addrsig
	.addrsig_sym __hip_cuid_e81d105895ae60d8
	.amdgpu_metadata
---
amdhsa.kernels:
  - .args:
      - .actual_access:  read_only
        .address_space:  global
        .offset:         0
        .size:           8
        .value_kind:     global_buffer
      - .offset:         8
        .size:           8
        .value_kind:     by_value
      - .actual_access:  read_only
        .address_space:  global
        .offset:         16
        .size:           8
        .value_kind:     global_buffer
      - .actual_access:  read_only
        .address_space:  global
        .offset:         24
        .size:           8
        .value_kind:     global_buffer
      - .actual_access:  read_only
        .address_space:  global
        .offset:         32
        .size:           8
        .value_kind:     global_buffer
      - .offset:         40
        .size:           8
        .value_kind:     by_value
      - .actual_access:  read_only
        .address_space:  global
        .offset:         48
        .size:           8
        .value_kind:     global_buffer
      - .actual_access:  read_only
        .address_space:  global
        .offset:         56
        .size:           8
        .value_kind:     global_buffer
      - .offset:         64
        .size:           4
        .value_kind:     by_value
      - .actual_access:  read_only
        .address_space:  global
        .offset:         72
        .size:           8
        .value_kind:     global_buffer
      - .actual_access:  read_only
        .address_space:  global
        .offset:         80
        .size:           8
        .value_kind:     global_buffer
      - .actual_access:  read_only
        .address_space:  global
        .offset:         88
        .size:           8
        .value_kind:     global_buffer
      - .actual_access:  write_only
        .address_space:  global
        .offset:         96
        .size:           8
        .value_kind:     global_buffer
    .group_segment_fixed_size: 0
    .kernarg_segment_align: 8
    .kernarg_segment_size: 104
    .language:       OpenCL C
    .language_version:
      - 2
      - 0
    .max_flat_workgroup_size: 96
    .name:           fft_rtc_back_len576_factors_16_6_6_wgs_96_tpt_96_halfLds_dp_op_CI_CI_unitstride_sbrr_dirReg
    .private_segment_fixed_size: 0
    .sgpr_count:     32
    .sgpr_spill_count: 0
    .symbol:         fft_rtc_back_len576_factors_16_6_6_wgs_96_tpt_96_halfLds_dp_op_CI_CI_unitstride_sbrr_dirReg.kd
    .uniform_work_group_size: 1
    .uses_dynamic_stack: false
    .vgpr_count:     98
    .vgpr_spill_count: 0
    .wavefront_size: 64
amdhsa.target:   amdgcn-amd-amdhsa--gfx906
amdhsa.version:
  - 1
  - 2
...

	.end_amdgpu_metadata
